;; amdgpu-corpus repo=ROCm/rocFFT kind=compiled arch=gfx1201 opt=O3
	.text
	.amdgcn_target "amdgcn-amd-amdhsa--gfx1201"
	.amdhsa_code_object_version 6
	.protected	bluestein_single_back_len504_dim1_dp_op_CI_CI ; -- Begin function bluestein_single_back_len504_dim1_dp_op_CI_CI
	.globl	bluestein_single_back_len504_dim1_dp_op_CI_CI
	.p2align	8
	.type	bluestein_single_back_len504_dim1_dp_op_CI_CI,@function
bluestein_single_back_len504_dim1_dp_op_CI_CI: ; @bluestein_single_back_len504_dim1_dp_op_CI_CI
; %bb.0:
	s_load_b128 s[12:15], s[0:1], 0x28
	v_mul_u32_u24_e32 v1, 0x411, v0
	s_mov_b32 s2, exec_lo
	v_mov_b32_e32 v147, 0
	s_delay_alu instid0(VALU_DEP_2) | instskip(NEXT) | instid1(VALU_DEP_1)
	v_lshrrev_b32_e32 v1, 16, v1
	v_add_nc_u32_e32 v146, ttmp9, v1
	s_wait_kmcnt 0x0
	s_delay_alu instid0(VALU_DEP_1)
	v_cmpx_gt_u64_e64 s[12:13], v[146:147]
	s_cbranch_execz .LBB0_23
; %bb.1:
	s_clause 0x1
	s_load_b128 s[4:7], s[0:1], 0x18
	s_load_b64 s[12:13], s[0:1], 0x0
	v_mul_lo_u16 v1, v1, 63
	s_delay_alu instid0(VALU_DEP_1) | instskip(NEXT) | instid1(VALU_DEP_1)
	v_sub_nc_u16 v86, v0, v1
	v_and_b32_e32 v176, 0xffff, v86
	s_wait_kmcnt 0x0
	s_load_b128 s[8:11], s[4:5], 0x0
	s_wait_kmcnt 0x0
	v_mad_co_u64_u32 v[0:1], null, s10, v146, 0
	v_mad_co_u64_u32 v[2:3], null, s8, v176, 0
	s_mul_u64 s[2:3], s[8:9], 0x48
	s_delay_alu instid0(VALU_DEP_1) | instskip(NEXT) | instid1(VALU_DEP_1)
	v_mad_co_u64_u32 v[4:5], null, s11, v146, v[1:2]
	v_mov_b32_e32 v1, v4
	s_delay_alu instid0(VALU_DEP_3) | instskip(SKIP_1) | instid1(VALU_DEP_3)
	v_mad_co_u64_u32 v[5:6], null, s9, v176, v[3:4]
	v_lshlrev_b32_e32 v175, 4, v176
	v_lshlrev_b64_e32 v[0:1], 4, v[0:1]
	s_delay_alu instid0(VALU_DEP_3) | instskip(NEXT) | instid1(VALU_DEP_2)
	v_mov_b32_e32 v3, v5
	v_add_co_u32 v0, vcc_lo, s14, v0
	s_delay_alu instid0(VALU_DEP_3) | instskip(NEXT) | instid1(VALU_DEP_3)
	v_add_co_ci_u32_e32 v1, vcc_lo, s15, v1, vcc_lo
	v_lshlrev_b64_e32 v[2:3], 4, v[2:3]
	s_lshl_b64 s[14:15], s[2:3], 4
	v_add_co_u32 v144, s2, s12, v175
	s_delay_alu instid0(VALU_DEP_1) | instskip(NEXT) | instid1(VALU_DEP_3)
	v_add_co_ci_u32_e64 v145, null, s13, 0, s2
	v_add_co_u32 v16, vcc_lo, v0, v2
	s_wait_alu 0xfffd
	v_add_co_ci_u32_e32 v17, vcc_lo, v1, v3, vcc_lo
	s_clause 0x1
	global_load_b128 v[0:3], v175, s[12:13]
	global_load_b128 v[4:7], v175, s[12:13] offset:1152
	s_wait_alu 0xfffe
	v_add_co_u32 v18, vcc_lo, v16, s14
	s_wait_alu 0xfffd
	v_add_co_ci_u32_e32 v19, vcc_lo, s15, v17, vcc_lo
	s_clause 0x1
	global_load_b128 v[8:11], v175, s[12:13] offset:2304
	global_load_b128 v[12:15], v175, s[12:13] offset:3456
	v_add_co_u32 v20, vcc_lo, v18, s14
	s_wait_alu 0xfffd
	v_add_co_ci_u32_e32 v21, vcc_lo, s15, v19, vcc_lo
	s_clause 0x1
	global_load_b128 v[30:33], v[16:17], off
	global_load_b128 v[34:37], v[18:19], off
	v_add_co_u32 v22, vcc_lo, v20, s14
	s_wait_alu 0xfffd
	v_add_co_ci_u32_e32 v23, vcc_lo, s15, v21, vcc_lo
	s_clause 0x1
	global_load_b128 v[38:41], v[20:21], off
	global_load_b128 v[42:45], v[22:23], off
	v_add_co_u32 v16, vcc_lo, v22, s14
	s_wait_alu 0xfffd
	v_add_co_ci_u32_e32 v17, vcc_lo, s15, v23, vcc_lo
	s_delay_alu instid0(VALU_DEP_2) | instskip(SKIP_1) | instid1(VALU_DEP_2)
	v_add_co_u32 v24, vcc_lo, v16, s14
	s_wait_alu 0xfffd
	v_add_co_ci_u32_e32 v25, vcc_lo, s15, v17, vcc_lo
	global_load_b128 v[46:49], v[16:17], off
	v_add_co_u32 v28, vcc_lo, v24, s14
	s_wait_alu 0xfffd
	v_add_co_ci_u32_e32 v29, vcc_lo, s15, v25, vcc_lo
	s_clause 0x1
	global_load_b128 v[20:23], v175, s[12:13] offset:4608
	global_load_b128 v[16:19], v175, s[12:13] offset:5760
	global_load_b128 v[50:53], v[24:25], off
	global_load_b128 v[24:27], v175, s[12:13] offset:6912
	global_load_b128 v[54:57], v[28:29], off
	s_load_b64 s[10:11], s[0:1], 0x38
	s_load_b128 s[4:7], s[6:7], 0x0
	v_cmp_gt_u16_e32 vcc_lo, 9, v86
	s_wait_loadcnt 0x9
	v_mul_f64_e32 v[58:59], v[32:33], v[2:3]
	v_mul_f64_e32 v[60:61], v[30:31], v[2:3]
	s_wait_loadcnt 0x8
	v_mul_f64_e32 v[62:63], v[36:37], v[6:7]
	v_mul_f64_e32 v[64:65], v[34:35], v[6:7]
	;; [unrolled: 3-line block ×7, first 2 shown]
	v_fma_f64 v[30:31], v[30:31], v[0:1], v[58:59]
	v_fma_f64 v[32:33], v[32:33], v[0:1], -v[60:61]
	v_fma_f64 v[34:35], v[34:35], v[4:5], v[62:63]
	v_fma_f64 v[36:37], v[36:37], v[4:5], -v[64:65]
	ds_store_b128 v175, v[30:33]
	ds_store_b128 v175, v[34:37] offset:1152
	v_fma_f64 v[38:39], v[38:39], v[8:9], v[66:67]
	v_fma_f64 v[40:41], v[40:41], v[8:9], -v[68:69]
	v_fma_f64 v[42:43], v[42:43], v[12:13], v[70:71]
	v_fma_f64 v[44:45], v[44:45], v[12:13], -v[72:73]
	;; [unrolled: 2-line block ×5, first 2 shown]
	ds_store_b128 v175, v[38:41] offset:2304
	ds_store_b128 v175, v[42:45] offset:3456
	;; [unrolled: 1-line block ×5, first 2 shown]
	s_and_saveexec_b32 s3, vcc_lo
	s_cbranch_execz .LBB0_3
; %bb.2:
	v_mad_co_u64_u32 v[44:45], null, 0xffffe8f0, s8, v[28:29]
	s_mul_i32 s2, s9, 0xffffe8f0
	s_clause 0x1
	global_load_b128 v[28:31], v[144:145], off offset:1008
	global_load_b128 v[32:35], v[144:145], off offset:2160
	s_wait_alu 0xfffe
	s_sub_co_i32 s2, s2, s8
	s_clause 0x1
	global_load_b128 v[36:39], v[144:145], off offset:3312
	global_load_b128 v[40:43], v[144:145], off offset:4464
	s_wait_alu 0xfffe
	v_add_nc_u32_e32 v45, s2, v45
	v_add_co_u32 v48, s2, v44, s14
	s_wait_alu 0xf1ff
	s_delay_alu instid0(VALU_DEP_2) | instskip(NEXT) | instid1(VALU_DEP_2)
	v_add_co_ci_u32_e64 v49, s2, s15, v45, s2
	v_add_co_u32 v52, s2, v48, s14
	global_load_b128 v[44:47], v[44:45], off
	s_wait_alu 0xf1ff
	v_add_co_ci_u32_e64 v53, s2, s15, v49, s2
	v_add_co_u32 v56, s2, v52, s14
	global_load_b128 v[48:51], v[48:49], off
	s_wait_alu 0xf1ff
	v_add_co_ci_u32_e64 v57, s2, s15, v53, s2
	v_add_co_u32 v60, s2, v56, s14
	global_load_b128 v[52:55], v[52:53], off
	s_wait_alu 0xf1ff
	v_add_co_ci_u32_e64 v61, s2, s15, v57, s2
	v_add_co_u32 v72, s2, v60, s14
	global_load_b128 v[56:59], v[56:57], off
	s_wait_alu 0xf1ff
	v_add_co_ci_u32_e64 v73, s2, s15, v61, s2
	v_add_co_u32 v80, s2, v72, s14
	global_load_b128 v[60:63], v[60:61], off
	s_wait_alu 0xf1ff
	v_add_co_ci_u32_e64 v81, s2, s15, v73, s2
	s_clause 0x1
	global_load_b128 v[64:67], v[144:145], off offset:5616
	global_load_b128 v[68:71], v[144:145], off offset:6768
	global_load_b128 v[72:75], v[72:73], off
	global_load_b128 v[76:79], v[144:145], off offset:7920
	global_load_b128 v[80:83], v[80:81], off
	s_wait_loadcnt 0x9
	v_mul_f64_e32 v[84:85], v[46:47], v[30:31]
	v_mul_f64_e32 v[30:31], v[44:45], v[30:31]
	s_wait_loadcnt 0x8
	v_mul_f64_e32 v[86:87], v[50:51], v[34:35]
	v_mul_f64_e32 v[34:35], v[48:49], v[34:35]
	;; [unrolled: 3-line block ×7, first 2 shown]
	v_fma_f64 v[42:43], v[44:45], v[28:29], v[84:85]
	v_fma_f64 v[44:45], v[46:47], v[28:29], -v[30:31]
	v_fma_f64 v[28:29], v[48:49], v[32:33], v[86:87]
	v_fma_f64 v[30:31], v[50:51], v[32:33], -v[34:35]
	;; [unrolled: 2-line block ×7, first 2 shown]
	ds_store_b128 v175, v[42:45] offset:1008
	ds_store_b128 v175, v[28:31] offset:2160
	;; [unrolled: 1-line block ×7, first 2 shown]
.LBB0_3:
	s_wait_alu 0xfffe
	s_or_b32 exec_lo, exec_lo, s3
	global_wb scope:SCOPE_SE
	s_wait_dscnt 0x0
	s_wait_kmcnt 0x0
	s_barrier_signal -1
	s_barrier_wait -1
	global_inv scope:SCOPE_SE
	ds_load_b128 v[32:35], v175
	ds_load_b128 v[36:39], v175 offset:1152
	ds_load_b128 v[44:47], v175 offset:2304
	;; [unrolled: 1-line block ×6, first 2 shown]
                                        ; implicit-def: $vgpr28_vgpr29
                                        ; implicit-def: $vgpr60_vgpr61
                                        ; implicit-def: $vgpr64_vgpr65
                                        ; implicit-def: $vgpr68_vgpr69
                                        ; implicit-def: $vgpr72_vgpr73
                                        ; implicit-def: $vgpr76_vgpr77
                                        ; implicit-def: $vgpr80_vgpr81
	s_and_saveexec_b32 s2, vcc_lo
	s_cbranch_execz .LBB0_5
; %bb.4:
	ds_load_b128 v[28:31], v175 offset:1008
	ds_load_b128 v[60:63], v175 offset:2160
	;; [unrolled: 1-line block ×7, first 2 shown]
.LBB0_5:
	s_wait_alu 0xfffe
	s_or_b32 exec_lo, exec_lo, s2
	s_wait_dscnt 0x0
	v_add_f64_e32 v[84:85], v[36:37], v[52:53]
	v_add_f64_e32 v[86:87], v[38:39], v[54:55]
	;; [unrolled: 1-line block ×10, first 2 shown]
	v_add_f64_e64 v[44:45], v[44:45], -v[56:57]
	v_add_f64_e64 v[46:47], v[46:47], -v[58:59]
	;; [unrolled: 1-line block ×8, first 2 shown]
	v_add_f64_e32 v[56:57], v[68:69], v[72:73]
	v_add_f64_e32 v[58:59], v[70:71], v[74:75]
	v_add_f64_e64 v[64:65], v[72:73], -v[68:69]
	v_add_f64_e64 v[66:67], v[74:75], -v[70:71]
	;; [unrolled: 1-line block ×4, first 2 shown]
	s_mov_b32 s2, 0x37e14327
	s_mov_b32 s8, 0x36b3c0b5
	;; [unrolled: 1-line block ×14, first 2 shown]
	global_wb scope:SCOPE_SE
	s_barrier_signal -1
	v_add_f64_e32 v[48:49], v[88:89], v[84:85]
	v_add_f64_e32 v[50:51], v[90:91], v[86:87]
	s_barrier_wait -1
	global_inv scope:SCOPE_SE
	v_add_f64_e32 v[60:61], v[96:97], v[92:93]
	v_add_f64_e32 v[62:63], v[98:99], v[94:95]
	v_add_f64_e64 v[72:73], v[84:85], -v[100:101]
	v_add_f64_e64 v[74:75], v[86:87], -v[102:103]
	;; [unrolled: 1-line block ×10, first 2 shown]
	v_add_f64_e32 v[44:45], v[40:41], v[44:45]
	v_add_f64_e32 v[46:47], v[42:43], v[46:47]
	v_add_f64_e64 v[108:109], v[64:65], -v[52:53]
	v_add_f64_e64 v[110:111], v[66:67], -v[54:55]
	;; [unrolled: 1-line block ×6, first 2 shown]
	v_add_f64_e32 v[52:53], v[64:65], v[52:53]
	v_add_f64_e32 v[54:55], v[66:67], v[54:55]
	;; [unrolled: 1-line block ×4, first 2 shown]
	v_add_f64_e64 v[100:101], v[92:93], -v[56:57]
	v_add_f64_e64 v[102:103], v[94:95], -v[58:59]
	v_add_f64_e32 v[116:117], v[56:57], v[60:61]
	v_add_f64_e32 v[118:119], v[58:59], v[62:63]
	v_add_f64_e64 v[56:57], v[56:57], -v[96:97]
	v_add_f64_e64 v[58:59], v[58:59], -v[98:99]
	s_wait_alu 0xfffe
	v_mul_f64_e32 v[72:73], s[2:3], v[72:73]
	v_mul_f64_e32 v[74:75], s[2:3], v[74:75]
	;; [unrolled: 1-line block ×8, first 2 shown]
	v_add_f64_e32 v[36:37], v[44:45], v[36:37]
	v_add_f64_e32 v[38:39], v[46:47], v[38:39]
	;; [unrolled: 1-line block ×6, first 2 shown]
	v_add_f64_e64 v[32:33], v[68:69], -v[64:65]
	v_add_f64_e64 v[34:35], v[70:71], -v[66:67]
	v_mul_f64_e32 v[64:65], s[2:3], v[100:101]
	v_mul_f64_e32 v[66:67], s[2:3], v[102:103]
	;; [unrolled: 1-line block ×6, first 2 shown]
	v_add_f64_e32 v[76:77], v[28:29], v[116:117]
	v_add_f64_e32 v[78:79], v[30:31], v[118:119]
	v_add_f64_e64 v[28:29], v[96:97], -v[92:93]
	v_add_f64_e64 v[30:31], v[98:99], -v[94:95]
	v_mul_f64_e32 v[92:93], s[8:9], v[56:57]
	v_mul_f64_e32 v[94:95], s[8:9], v[58:59]
	s_mov_b32 s2, 0x5476071b
	s_mov_b32 s3, 0x3fe77f67
	;; [unrolled: 1-line block ×3, first 2 shown]
	s_wait_alu 0xfffe
	s_mov_b32 s14, s2
	v_fma_f64 v[52:53], v[80:81], s[8:9], v[72:73]
	v_fma_f64 v[54:55], v[82:83], s[8:9], v[74:75]
	v_fma_f64 v[68:69], v[84:85], s[2:3], -v[88:89]
	v_fma_f64 v[70:71], v[86:87], s[2:3], -v[90:91]
	v_fma_f64 v[80:81], v[40:41], s[20:21], v[120:121]
	v_fma_f64 v[82:83], v[42:43], s[20:21], v[122:123]
	v_fma_f64 v[88:89], v[104:105], s[16:17], -v[120:121]
	v_fma_f64 v[90:91], v[106:107], s[16:17], -v[122:123]
	;; [unrolled: 1-line block ×4, first 2 shown]
	s_wait_alu 0xfffe
	v_fma_f64 v[72:73], v[84:85], s[14:15], -v[72:73]
	v_fma_f64 v[74:75], v[86:87], s[14:15], -v[74:75]
	v_fma_f64 v[48:49], v[48:49], s[18:19], v[60:61]
	v_fma_f64 v[50:51], v[50:51], s[18:19], v[62:63]
	;; [unrolled: 1-line block ×6, first 2 shown]
	v_fma_f64 v[96:97], v[112:113], s[16:17], -v[100:101]
	v_fma_f64 v[98:99], v[114:115], s[16:17], -v[102:103]
	;; [unrolled: 1-line block ×4, first 2 shown]
	v_fma_f64 v[100:101], v[116:117], s[18:19], v[76:77]
	v_fma_f64 v[102:103], v[118:119], s[18:19], v[78:79]
	v_fma_f64 v[64:65], v[28:29], s[14:15], -v[64:65]
	v_fma_f64 v[66:67], v[30:31], s[14:15], -v[66:67]
	v_fma_f64 v[28:29], v[28:29], s[2:3], -v[92:93]
	v_fma_f64 v[30:31], v[30:31], s[2:3], -v[94:95]
	s_mov_b32 s2, 0x37c3f68c
	s_mov_b32 s3, 0x3fdc38aa
	s_wait_alu 0xfffe
	v_fma_f64 v[92:93], v[36:37], s[2:3], v[80:81]
	v_fma_f64 v[94:95], v[38:39], s[2:3], v[82:83]
	;; [unrolled: 1-line block ×6, first 2 shown]
	v_add_f64_e32 v[40:41], v[52:53], v[48:49]
	v_add_f64_e32 v[42:43], v[54:55], v[50:51]
	;; [unrolled: 1-line block ×6, first 2 shown]
	v_fma_f64 v[106:107], v[44:45], s[2:3], v[84:85]
	v_fma_f64 v[104:105], v[46:47], s[2:3], v[86:87]
	;; [unrolled: 1-line block ×6, first 2 shown]
	v_add_f64_e32 v[44:45], v[56:57], v[100:101]
	v_add_f64_e32 v[46:47], v[58:59], v[102:103]
	;; [unrolled: 1-line block ×6, first 2 shown]
	s_load_b64 s[2:3], s[0:1], 0x8
	v_add_f64_e32 v[80:81], v[40:41], v[94:95]
	v_add_f64_e64 v[82:83], v[42:43], -v[92:93]
	v_add_f64_e32 v[108:109], v[52:53], v[38:39]
	v_add_f64_e64 v[110:111], v[54:55], -v[36:37]
	v_add_f64_e64 v[68:69], v[48:49], -v[90:91]
	v_add_f64_e32 v[70:71], v[88:89], v[50:51]
	v_add_f64_e32 v[64:65], v[48:49], v[90:91]
	v_add_f64_e64 v[66:67], v[50:51], -v[88:89]
	v_add_f64_e64 v[72:73], v[52:53], -v[38:39]
	v_add_f64_e32 v[74:75], v[36:37], v[54:55]
	v_add_f64_e64 v[84:85], v[40:41], -v[94:95]
	v_add_f64_e32 v[86:87], v[92:93], v[42:43]
	v_add_f64_e32 v[112:113], v[44:45], v[104:105]
	v_add_f64_e64 v[114:115], v[46:47], -v[106:107]
	v_add_f64_e32 v[88:89], v[56:57], v[34:35]
	v_add_f64_e64 v[90:91], v[58:59], -v[32:33]
	v_add_f64_e64 v[92:93], v[28:29], -v[96:97]
	v_add_f64_e32 v[94:95], v[116:117], v[30:31]
	v_add_f64_e32 v[96:97], v[28:29], v[96:97]
	v_add_f64_e64 v[98:99], v[30:31], -v[116:117]
	v_add_f64_e64 v[100:101], v[56:57], -v[34:35]
	v_add_f64_e32 v[102:103], v[32:33], v[58:59]
	v_add_f64_e64 v[104:105], v[44:45], -v[104:105]
	v_add_f64_e32 v[106:107], v[106:107], v[46:47]
	v_mul_lo_u16 v28, v176, 7
	v_add_co_u32 v29, null, v176, 63
	s_delay_alu instid0(VALU_DEP_2) | instskip(NEXT) | instid1(VALU_DEP_2)
	v_and_b32_e32 v28, 0xffff, v28
	v_mul_u32_u24_e32 v179, 7, v29
	s_delay_alu instid0(VALU_DEP_2)
	v_lshlrev_b32_e32 v180, 4, v28
	ds_store_b128 v180, v[60:63]
	ds_store_b128 v180, v[80:83] offset:16
	ds_store_b128 v180, v[108:111] offset:32
	;; [unrolled: 1-line block ×6, first 2 shown]
	s_and_saveexec_b32 s0, vcc_lo
	s_cbranch_execz .LBB0_7
; %bb.6:
	v_lshlrev_b32_e32 v28, 4, v179
	ds_store_b128 v28, v[76:79]
	ds_store_b128 v28, v[112:115] offset:16
	ds_store_b128 v28, v[88:91] offset:32
	;; [unrolled: 1-line block ×6, first 2 shown]
.LBB0_7:
	s_wait_alu 0xfffe
	s_or_b32 exec_lo, exec_lo, s0
	v_cmp_gt_u16_e64 s0, 56, v176
	global_wb scope:SCOPE_SE
	s_wait_dscnt 0x0
	s_wait_kmcnt 0x0
	s_barrier_signal -1
	s_barrier_wait -1
	global_inv scope:SCOPE_SE
	s_and_saveexec_b32 s1, s0
	s_cbranch_execz .LBB0_9
; %bb.8:
	ds_load_b128 v[60:63], v175
	ds_load_b128 v[80:83], v175 offset:896
	ds_load_b128 v[108:111], v175 offset:1792
	;; [unrolled: 1-line block ×8, first 2 shown]
.LBB0_9:
	s_wait_alu 0xfffe
	s_or_b32 exec_lo, exec_lo, s1
	v_and_b32_e32 v28, 0xff, v176
	s_mov_b32 s16, 0xa2cf5039
	s_mov_b32 s9, 0x3fe491b7
	s_mov_b32 s8, 0x523c161c
	s_mov_b32 s17, 0x3fe8836f
	v_mul_lo_u16 v28, v28, 37
	s_mov_b32 s20, 0x8c811c17
	s_mov_b32 s24, 0x7e0b738b
	;; [unrolled: 1-line block ×4, first 2 shown]
	v_lshrrev_b16 v28, 8, v28
	s_mov_b32 s14, 0xe8584cab
	s_mov_b32 s15, 0x3febb67a
	;; [unrolled: 1-line block ×4, first 2 shown]
	v_sub_nc_u16 v29, v176, v28
	s_mov_b32 s19, 0x3fd5e3a8
	s_mov_b32 s23, 0xbfee11f6
	s_delay_alu instid0(VALU_DEP_1) | instskip(NEXT) | instid1(VALU_DEP_1)
	v_lshrrev_b16 v29, 1, v29
	v_and_b32_e32 v29, 0x7f, v29
	s_delay_alu instid0(VALU_DEP_1) | instskip(NEXT) | instid1(VALU_DEP_1)
	v_add_nc_u16 v28, v29, v28
	v_lshrrev_b16 v136, 2, v28
	s_delay_alu instid0(VALU_DEP_1) | instskip(SKIP_1) | instid1(VALU_DEP_2)
	v_mul_lo_u16 v28, v136, 7
	v_and_b32_e32 v178, 0xffff, v136
	v_sub_nc_u16 v28, v176, v28
	s_delay_alu instid0(VALU_DEP_1) | instskip(NEXT) | instid1(VALU_DEP_1)
	v_and_b32_e32 v177, 0xff, v28
	v_lshlrev_b32_e32 v56, 7, v177
	s_clause 0x7
	global_load_b128 v[28:31], v56, s[2:3]
	global_load_b128 v[40:43], v56, s[2:3] offset:112
	global_load_b128 v[44:47], v56, s[2:3] offset:16
	;; [unrolled: 1-line block ×7, first 2 shown]
	global_wb scope:SCOPE_SE
	s_wait_loadcnt_dscnt 0x0
	s_barrier_signal -1
	s_barrier_wait -1
	global_inv scope:SCOPE_SE
	v_mul_f64_e32 v[116:117], v[82:83], v[30:31]
	v_mul_f64_e32 v[118:119], v[80:81], v[30:31]
	;; [unrolled: 1-line block ×9, first 2 shown]
	v_fma_f64 v[116:117], v[80:81], v[28:29], -v[116:117]
	v_fma_f64 v[82:83], v[82:83], v[28:29], v[118:119]
	v_fma_f64 v[112:113], v[112:113], v[40:41], -v[120:121]
	v_fma_f64 v[114:115], v[114:115], v[40:41], v[122:123]
	v_mul_f64_e32 v[118:119], v[70:71], v[34:35]
	v_mul_f64_e32 v[120:121], v[68:69], v[34:35]
	;; [unrolled: 1-line block ×3, first 2 shown]
	v_fma_f64 v[108:109], v[108:109], v[44:45], -v[124:125]
	v_fma_f64 v[110:111], v[110:111], v[44:45], v[126:127]
	v_fma_f64 v[124:125], v[76:77], v[48:49], -v[128:129]
	v_fma_f64 v[126:127], v[78:79], v[48:49], v[130:131]
	v_mul_f64_e32 v[128:129], v[72:73], v[58:59]
	v_fma_f64 v[132:133], v[86:87], v[36:37], v[132:133]
	v_add_f64_e64 v[80:81], v[116:117], -v[112:113]
	v_add_f64_e64 v[78:79], v[82:83], -v[114:115]
	v_add_f64_e32 v[76:77], v[116:117], v[112:113]
	v_add_f64_e32 v[82:83], v[82:83], v[114:115]
	v_mul_f64_e32 v[112:113], v[66:67], v[54:55]
	v_mul_f64_e32 v[114:115], v[64:65], v[54:55]
	;; [unrolled: 1-line block ×3, first 2 shown]
	v_fma_f64 v[130:131], v[68:69], v[32:33], -v[118:119]
	v_fma_f64 v[120:121], v[70:71], v[32:33], v[120:121]
	v_fma_f64 v[122:123], v[84:85], v[36:37], -v[122:123]
	v_add_f64_e32 v[68:69], v[108:109], v[124:125]
	v_add_f64_e32 v[86:87], v[110:111], v[126:127]
	v_add_f64_e64 v[70:71], v[108:109], -v[124:125]
	v_add_f64_e64 v[84:85], v[110:111], -v[126:127]
	v_fma_f64 v[74:75], v[74:75], v[56:57], v[128:129]
	s_wait_alu 0xfffe
	v_mul_f64_e32 v[108:109], s[8:9], v[80:81]
	v_mul_f64_e32 v[110:111], s[8:9], v[78:79]
	v_fma_f64 v[124:125], v[76:77], s[16:17], v[60:61]
	v_fma_f64 v[126:127], v[82:83], s[16:17], v[62:63]
	v_fma_f64 v[112:113], v[64:65], v[52:53], -v[112:113]
	v_fma_f64 v[114:115], v[66:67], v[52:53], v[114:115]
	v_fma_f64 v[72:73], v[72:73], v[56:57], -v[116:117]
	v_add_f64_e32 v[118:119], v[120:121], v[132:133]
	v_add_f64_e32 v[116:117], v[130:131], v[122:123]
	v_add_f64_e64 v[128:129], v[130:131], -v[122:123]
	v_add_f64_e64 v[130:131], v[120:121], -v[132:133]
	v_fma_f64 v[64:65], v[70:71], s[20:21], v[108:109]
	v_fma_f64 v[66:67], v[84:85], s[20:21], v[110:111]
	;; [unrolled: 1-line block ×4, first 2 shown]
	v_add_f64_e64 v[124:125], v[114:115], -v[74:75]
	v_add_f64_e64 v[122:123], v[112:113], -v[72:73]
	v_add_f64_e32 v[120:121], v[112:113], v[72:73]
	v_add_f64_e32 v[126:127], v[114:115], v[74:75]
	v_fma_f64 v[64:65], v[128:129], s[14:15], v[64:65]
	v_fma_f64 v[66:67], v[130:131], s[14:15], v[66:67]
	v_fma_f64 v[108:109], v[116:117], -0.5, v[108:109]
	v_fma_f64 v[110:111], v[118:119], -0.5, v[110:111]
	s_delay_alu instid0(VALU_DEP_4) | instskip(NEXT) | instid1(VALU_DEP_4)
	v_fma_f64 v[132:133], v[122:123], s[18:19], v[64:65]
	v_fma_f64 v[134:135], v[124:125], s[18:19], v[66:67]
	s_delay_alu instid0(VALU_DEP_4) | instskip(NEXT) | instid1(VALU_DEP_4)
	v_fma_f64 v[64:65], v[120:121], s[22:23], v[108:109]
	v_fma_f64 v[66:67], v[126:127], s[22:23], v[110:111]
	s_delay_alu instid0(VALU_DEP_2) | instskip(NEXT) | instid1(VALU_DEP_2)
	v_add_f64_e32 v[64:65], v[134:135], v[64:65]
	v_add_f64_e64 v[66:67], v[66:67], -v[132:133]
	s_delay_alu instid0(VALU_DEP_2) | instskip(NEXT) | instid1(VALU_DEP_2)
	v_fma_f64 v[108:109], v[134:135], -2.0, v[64:65]
	v_fma_f64 v[110:111], v[132:133], 2.0, v[66:67]
	s_and_saveexec_b32 s1, s0
	s_cbranch_execz .LBB0_11
; %bb.10:
	v_mul_f64_e32 v[132:133], s[20:21], v[122:123]
	s_mov_b32 s9, 0xbfe491b7
	v_fma_f64 v[134:135], v[86:87], s[16:17], v[62:63]
	v_mul_f64_e32 v[136:137], s[20:21], v[124:125]
	v_fma_f64 v[138:139], v[68:69], s[16:17], v[60:61]
	v_fma_f64 v[140:141], v[126:127], s[16:17], v[62:63]
	;; [unrolled: 1-line block ×3, first 2 shown]
	s_wait_alu 0xfffe
	v_mul_f64_e32 v[147:148], s[8:9], v[122:123]
	v_mul_f64_e32 v[149:150], s[8:9], v[124:125]
	v_add_f64_e32 v[151:152], v[86:87], v[82:83]
	v_add_f64_e32 v[153:154], v[68:69], v[76:77]
	v_mul_f64_e32 v[128:129], s[14:15], v[128:129]
	v_mul_f64_e32 v[130:131], s[14:15], v[130:131]
	v_mul_f64_e32 v[155:156], 0.5, v[116:117]
	v_mul_f64_e32 v[157:158], 0.5, v[118:119]
	v_add_f64_e32 v[159:160], v[62:63], v[118:119]
	v_add_f64_e32 v[161:162], v[60:61], v[116:117]
	;; [unrolled: 1-line block ×4, first 2 shown]
	v_fma_f64 v[132:133], v[70:71], s[8:9], -v[132:133]
	v_fma_f64 v[134:135], v[126:127], s[24:25], v[134:135]
	v_fma_f64 v[136:137], v[84:85], s[8:9], -v[136:137]
	v_fma_f64 v[138:139], v[120:121], s[24:25], v[138:139]
	v_fma_f64 v[140:141], v[82:83], s[24:25], v[140:141]
	;; [unrolled: 1-line block ×5, first 2 shown]
	v_add_f64_e32 v[118:119], v[118:119], v[151:152]
	v_add_f64_e32 v[116:117], v[116:117], v[153:154]
	;; [unrolled: 1-line block ×4, first 2 shown]
	s_mov_b32 s9, 0xbfebb67a
	s_mov_b32 s8, s14
	v_add_f64_e64 v[122:123], v[122:123], -v[70:71]
	v_add_f64_e64 v[124:125], v[124:125], -v[84:85]
	v_add_f64_e32 v[132:133], v[128:129], v[132:133]
	v_add_f64_e64 v[134:135], v[134:135], -v[157:158]
	v_add_f64_e32 v[136:137], v[130:131], v[136:137]
	v_add_f64_e64 v[138:139], v[138:139], -v[155:156]
	v_add_f64_e64 v[140:141], v[140:141], -v[157:158]
	;; [unrolled: 1-line block ×5, first 2 shown]
	v_add_f64_e32 v[114:115], v[114:115], v[118:119]
	v_add_f64_e32 v[112:113], v[112:113], v[116:117]
	v_fma_f64 v[116:117], v[126:127], -0.5, v[159:160]
	v_fma_f64 v[118:119], v[120:121], -0.5, v[161:162]
	v_fma_f64 v[120:121], v[80:81], s[18:19], v[132:133]
	v_fma_f64 v[80:81], v[82:83], s[22:23], v[134:135]
	v_fma_f64 v[126:127], v[78:79], s[18:19], v[136:137]
	v_fma_f64 v[76:77], v[76:77], s[22:23], v[138:139]
	v_fma_f64 v[78:79], v[86:87], s[22:23], v[140:141]
	v_fma_f64 v[82:83], v[68:69], s[22:23], v[142:143]
	v_fma_f64 v[128:129], v[70:71], s[18:19], v[128:129]
	v_fma_f64 v[130:131], v[84:85], s[18:19], v[130:131]
	v_add_f64_e32 v[86:87], v[74:75], v[114:115]
	v_add_f64_e32 v[112:113], v[72:73], v[112:113]
	v_mul_f64_e32 v[84:85], s[14:15], v[122:123]
	s_wait_alu 0xfffe
	v_fma_f64 v[70:71], v[122:123], s[8:9], v[116:117]
	v_mul_f64_e32 v[114:115], s[14:15], v[124:125]
	v_fma_f64 v[68:69], v[124:125], s[14:15], v[118:119]
	v_mul_u32_u24_e32 v116, 63, v178
	s_delay_alu instid0(VALU_DEP_1)
	v_add_lshl_u32 v116, v116, v177, 4
	v_add_f64_e64 v[74:75], v[80:81], -v[120:121]
	v_add_f64_e32 v[72:73], v[126:127], v[76:77]
	v_add_f64_e64 v[78:79], v[78:79], -v[128:129]
	v_add_f64_e32 v[76:77], v[130:131], v[82:83]
	v_add_f64_e32 v[62:63], v[62:63], v[86:87]
	;; [unrolled: 1-line block ×3, first 2 shown]
	v_fma_f64 v[82:83], v[84:85], 2.0, v[70:71]
	v_fma_f64 v[80:81], v[114:115], -2.0, v[68:69]
	v_fma_f64 v[86:87], v[120:121], 2.0, v[74:75]
	v_fma_f64 v[84:85], v[126:127], -2.0, v[72:73]
	;; [unrolled: 2-line block ×3, first 2 shown]
	ds_store_b128 v116, v[60:63]
	ds_store_b128 v116, v[64:67] offset:112
	ds_store_b128 v116, v[76:79] offset:224
	;; [unrolled: 1-line block ×8, first 2 shown]
.LBB0_11:
	s_wait_alu 0xfffe
	s_or_b32 exec_lo, exec_lo, s1
	v_mad_co_u64_u32 v[128:129], null, v176, 48, s[2:3]
	global_wb scope:SCOPE_SE
	s_wait_dscnt 0x0
	s_barrier_signal -1
	s_barrier_wait -1
	global_inv scope:SCOPE_SE
	s_add_nc_u64 s[2:3], s[12:13], 0x1f80
	s_clause 0x2
	global_load_b128 v[68:71], v[128:129], off offset:896
	global_load_b128 v[64:67], v[128:129], off offset:912
	;; [unrolled: 1-line block ×3, first 2 shown]
	ds_load_b128 v[72:75], v175 offset:2016
	ds_load_b128 v[76:79], v175 offset:4032
	;; [unrolled: 1-line block ×6, first 2 shown]
	s_wait_loadcnt_dscnt 0x205
	v_mul_f64_e32 v[120:121], v[74:75], v[70:71]
	v_mul_f64_e32 v[122:123], v[72:73], v[70:71]
	s_wait_loadcnt_dscnt 0x104
	v_mul_f64_e32 v[124:125], v[78:79], v[66:67]
	v_mul_f64_e32 v[126:127], v[76:77], v[66:67]
	s_wait_loadcnt_dscnt 0x3
	v_mul_f64_e32 v[130:131], v[82:83], v[62:63]
	v_mul_f64_e32 v[132:133], v[80:81], v[62:63]
	s_wait_dscnt 0x2
	v_mul_f64_e32 v[134:135], v[86:87], v[70:71]
	v_mul_f64_e32 v[136:137], v[84:85], v[70:71]
	s_wait_dscnt 0x1
	v_mul_f64_e32 v[138:139], v[114:115], v[66:67]
	v_mul_f64_e32 v[140:141], v[112:113], v[66:67]
	;; [unrolled: 3-line block ×3, first 2 shown]
	v_fma_f64 v[120:121], v[72:73], v[68:69], -v[120:121]
	v_fma_f64 v[122:123], v[74:75], v[68:69], v[122:123]
	v_fma_f64 v[124:125], v[76:77], v[64:65], -v[124:125]
	v_fma_f64 v[126:127], v[78:79], v[64:65], v[126:127]
	v_fma_f64 v[80:81], v[80:81], v[60:61], -v[130:131]
	v_fma_f64 v[82:83], v[82:83], v[60:61], v[132:133]
	v_fma_f64 v[84:85], v[84:85], v[68:69], -v[134:135]
	v_fma_f64 v[86:87], v[86:87], v[68:69], v[136:137]
	v_fma_f64 v[112:113], v[112:113], v[64:65], -v[138:139]
	v_fma_f64 v[114:115], v[114:115], v[64:65], v[140:141]
	v_fma_f64 v[116:117], v[116:117], v[60:61], -v[142:143]
	v_fma_f64 v[118:119], v[118:119], v[60:61], v[147:148]
	ds_load_b128 v[72:75], v175
	ds_load_b128 v[76:79], v175 offset:1008
	global_wb scope:SCOPE_SE
	s_wait_dscnt 0x0
	s_barrier_signal -1
	s_barrier_wait -1
	global_inv scope:SCOPE_SE
	v_add_f64_e64 v[124:125], v[72:73], -v[124:125]
	v_add_f64_e64 v[126:127], v[74:75], -v[126:127]
	;; [unrolled: 1-line block ×8, first 2 shown]
	v_fma_f64 v[118:119], v[72:73], 2.0, -v[124:125]
	v_fma_f64 v[134:135], v[74:75], 2.0, -v[126:127]
	;; [unrolled: 1-line block ×4, first 2 shown]
	v_add_f64_e64 v[72:73], v[124:125], -v[82:83]
	v_add_f64_e32 v[74:75], v[126:127], v[80:81]
	v_fma_f64 v[136:137], v[76:77], 2.0, -v[130:131]
	v_fma_f64 v[138:139], v[78:79], 2.0, -v[132:133]
	;; [unrolled: 1-line block ×4, first 2 shown]
	v_add_f64_e64 v[76:77], v[130:131], -v[114:115]
	v_add_f64_e64 v[80:81], v[118:119], -v[116:117]
	;; [unrolled: 1-line block ×3, first 2 shown]
	v_fma_f64 v[114:115], v[126:127], 2.0, -v[74:75]
	v_add_f64_e64 v[84:85], v[136:137], -v[78:79]
	v_add_f64_e64 v[86:87], v[138:139], -v[86:87]
	v_add_f64_e32 v[78:79], v[132:133], v[112:113]
	v_fma_f64 v[112:113], v[124:125], 2.0, -v[72:73]
	v_fma_f64 v[116:117], v[130:131], 2.0, -v[76:77]
	v_lshlrev_b32_e32 v130, 5, v176
	s_delay_alu instid0(VALU_DEP_1)
	v_sub_co_u32 v128, s1, v128, v130
	s_wait_alu 0xf1ff
	v_subrev_co_ci_u32_e64 v129, s1, 0, v129, s1
	v_fma_f64 v[120:121], v[118:119], 2.0, -v[80:81]
	v_fma_f64 v[122:123], v[134:135], 2.0, -v[82:83]
	;; [unrolled: 1-line block ×5, first 2 shown]
	ds_store_b128 v175, v[80:83] offset:2016
	ds_store_b128 v175, v[72:75] offset:3024
	;; [unrolled: 1-line block ×4, first 2 shown]
	ds_store_b128 v175, v[120:123]
	ds_store_b128 v175, v[112:115] offset:1008
	ds_store_b128 v175, v[124:127] offset:4032
	ds_store_b128 v175, v[116:119] offset:5040
	global_wb scope:SCOPE_SE
	s_wait_dscnt 0x0
	s_barrier_signal -1
	s_barrier_wait -1
	global_inv scope:SCOPE_SE
	s_clause 0x3
	global_load_b128 v[72:75], v[128:129], off offset:3920
	global_load_b128 v[76:79], v[128:129], off offset:4928
	;; [unrolled: 1-line block ×4, first 2 shown]
	ds_load_b128 v[112:115], v175 offset:4032
	ds_load_b128 v[116:119], v175 offset:5040
	;; [unrolled: 1-line block ×4, first 2 shown]
	s_wait_loadcnt_dscnt 0x303
	v_mul_f64_e32 v[128:129], v[114:115], v[74:75]
	v_mul_f64_e32 v[130:131], v[112:113], v[74:75]
	s_wait_loadcnt_dscnt 0x202
	v_mul_f64_e32 v[132:133], v[118:119], v[78:79]
	v_mul_f64_e32 v[134:135], v[116:117], v[78:79]
	;; [unrolled: 3-line block ×4, first 2 shown]
	v_fma_f64 v[112:113], v[112:113], v[72:73], -v[128:129]
	v_fma_f64 v[114:115], v[114:115], v[72:73], v[130:131]
	v_fma_f64 v[147:148], v[116:117], v[76:77], -v[132:133]
	v_fma_f64 v[149:150], v[118:119], v[76:77], v[134:135]
	;; [unrolled: 2-line block ×4, first 2 shown]
	ds_load_b128 v[116:119], v175
	ds_load_b128 v[120:123], v175 offset:1008
	ds_load_b128 v[124:127], v175 offset:2016
	;; [unrolled: 1-line block ×3, first 2 shown]
	s_wait_dscnt 0x3
	v_add_f64_e64 v[132:133], v[116:117], -v[112:113]
	v_add_f64_e64 v[134:135], v[118:119], -v[114:115]
	s_wait_dscnt 0x2
	v_add_f64_e64 v[136:137], v[120:121], -v[147:148]
	v_add_f64_e64 v[138:139], v[122:123], -v[149:150]
	;; [unrolled: 3-line block ×4, first 2 shown]
	v_fma_f64 v[116:117], v[116:117], 2.0, -v[132:133]
	v_fma_f64 v[118:119], v[118:119], 2.0, -v[134:135]
	;; [unrolled: 1-line block ×8, first 2 shown]
	ds_store_b128 v175, v[132:135] offset:4032
	ds_store_b128 v175, v[136:139] offset:5040
	;; [unrolled: 1-line block ×4, first 2 shown]
	ds_store_b128 v175, v[116:119]
	ds_store_b128 v175, v[120:123] offset:1008
	ds_store_b128 v175, v[124:127] offset:2016
	;; [unrolled: 1-line block ×3, first 2 shown]
	global_wb scope:SCOPE_SE
	s_wait_dscnt 0x0
	s_barrier_signal -1
	s_barrier_wait -1
	global_inv scope:SCOPE_SE
	s_clause 0x6
	global_load_b128 v[116:119], v[144:145], off offset:8064
	global_load_b128 v[120:123], v175, s[2:3] offset:1152
	global_load_b128 v[124:127], v175, s[2:3] offset:2304
	;; [unrolled: 1-line block ×6, first 2 shown]
	ds_load_b128 v[147:150], v175
	ds_load_b128 v[151:154], v175 offset:1152
	ds_load_b128 v[155:158], v175 offset:2304
	;; [unrolled: 1-line block ×6, first 2 shown]
	s_wait_loadcnt_dscnt 0x606
	v_mul_f64_e32 v[181:182], v[149:150], v[118:119]
	v_mul_f64_e32 v[118:119], v[147:148], v[118:119]
	s_wait_loadcnt_dscnt 0x505
	v_mul_f64_e32 v[183:184], v[153:154], v[122:123]
	v_mul_f64_e32 v[122:123], v[151:152], v[122:123]
	;; [unrolled: 3-line block ×7, first 2 shown]
	v_fma_f64 v[147:148], v[147:148], v[116:117], -v[181:182]
	v_fma_f64 v[149:150], v[149:150], v[116:117], v[118:119]
	v_fma_f64 v[116:117], v[151:152], v[120:121], -v[183:184]
	v_fma_f64 v[118:119], v[153:154], v[120:121], v[122:123]
	;; [unrolled: 2-line block ×7, first 2 shown]
	ds_store_b128 v175, v[147:150]
	ds_store_b128 v175, v[116:119] offset:1152
	ds_store_b128 v175, v[120:123] offset:2304
	;; [unrolled: 1-line block ×6, first 2 shown]
	s_and_saveexec_b32 s1, vcc_lo
	s_cbranch_execz .LBB0_13
; %bb.12:
	s_wait_alu 0xfffe
	v_add_co_u32 v140, s2, s2, v175
	s_wait_alu 0xf1ff
	v_add_co_ci_u32_e64 v141, null, s3, 0, s2
	s_clause 0x6
	global_load_b128 v[116:119], v[140:141], off offset:1008
	global_load_b128 v[120:123], v[140:141], off offset:2160
	global_load_b128 v[124:127], v[140:141], off offset:3312
	global_load_b128 v[128:131], v[140:141], off offset:4464
	global_load_b128 v[132:135], v[140:141], off offset:5616
	global_load_b128 v[136:139], v[140:141], off offset:6768
	global_load_b128 v[140:143], v[140:141], off offset:7920
	ds_load_b128 v[147:150], v175 offset:1008
	ds_load_b128 v[151:154], v175 offset:2160
	;; [unrolled: 1-line block ×7, first 2 shown]
	s_wait_loadcnt_dscnt 0x606
	v_mul_f64_e32 v[181:182], v[149:150], v[118:119]
	v_mul_f64_e32 v[118:119], v[147:148], v[118:119]
	s_wait_loadcnt_dscnt 0x505
	v_mul_f64_e32 v[183:184], v[153:154], v[122:123]
	v_mul_f64_e32 v[122:123], v[151:152], v[122:123]
	;; [unrolled: 3-line block ×7, first 2 shown]
	v_fma_f64 v[147:148], v[147:148], v[116:117], -v[181:182]
	v_fma_f64 v[149:150], v[149:150], v[116:117], v[118:119]
	v_fma_f64 v[116:117], v[151:152], v[120:121], -v[183:184]
	v_fma_f64 v[118:119], v[153:154], v[120:121], v[122:123]
	;; [unrolled: 2-line block ×7, first 2 shown]
	ds_store_b128 v175, v[147:150] offset:1008
	ds_store_b128 v175, v[116:119] offset:2160
	;; [unrolled: 1-line block ×7, first 2 shown]
.LBB0_13:
	s_wait_alu 0xfffe
	s_or_b32 exec_lo, exec_lo, s1
	global_wb scope:SCOPE_SE
	s_wait_dscnt 0x0
	s_barrier_signal -1
	s_barrier_wait -1
	global_inv scope:SCOPE_SE
	ds_load_b128 v[116:119], v175
	ds_load_b128 v[120:123], v175 offset:1152
	ds_load_b128 v[136:139], v175 offset:2304
	;; [unrolled: 1-line block ×6, first 2 shown]
	s_and_saveexec_b32 s1, vcc_lo
	s_cbranch_execz .LBB0_15
; %bb.14:
	ds_load_b128 v[112:115], v175 offset:1008
	ds_load_b128 v[108:111], v175 offset:2160
	;; [unrolled: 1-line block ×7, first 2 shown]
.LBB0_15:
	s_wait_alu 0xfffe
	s_or_b32 exec_lo, exec_lo, s1
	s_wait_dscnt 0x0
	v_add_f64_e32 v[155:156], v[120:121], v[132:133]
	v_add_f64_e32 v[157:158], v[122:123], v[134:135]
	;; [unrolled: 1-line block ×8, first 2 shown]
	v_add_f64_e64 v[136:137], v[136:137], -v[140:141]
	v_add_f64_e64 v[138:139], v[138:139], -v[142:143]
	v_add_f64_e32 v[140:141], v[124:125], v[128:129]
	v_add_f64_e32 v[142:143], v[126:127], v[130:131]
	v_add_f64_e64 v[163:164], v[128:129], -v[124:125]
	v_add_f64_e64 v[165:166], v[130:131], -v[126:127]
	;; [unrolled: 1-line block ×6, first 2 shown]
	v_add_f64_e32 v[104:105], v[92:93], v[96:97]
	v_add_f64_e32 v[106:107], v[94:95], v[98:99]
	v_add_f64_e64 v[92:93], v[96:97], -v[92:93]
	v_add_f64_e64 v[94:95], v[98:99], -v[94:95]
	s_mov_b32 s14, 0x37e14327
	s_mov_b32 s8, 0x36b3c0b5
	;; [unrolled: 1-line block ×14, first 2 shown]
	s_wait_alu 0xfffe
	s_mov_b32 s22, s18
	global_wb scope:SCOPE_SE
	s_barrier_signal -1
	s_barrier_wait -1
	v_add_f64_e32 v[128:129], v[159:160], v[155:156]
	v_add_f64_e32 v[130:131], v[161:162], v[157:158]
	global_inv scope:SCOPE_SE
	v_add_f64_e32 v[96:97], v[149:150], v[147:148]
	v_add_f64_e32 v[98:99], v[153:154], v[151:152]
	v_add_f64_e64 v[108:109], v[155:156], -v[140:141]
	v_add_f64_e64 v[110:111], v[157:158], -v[142:143]
	;; [unrolled: 1-line block ×10, first 2 shown]
	v_add_f64_e32 v[187:188], v[163:164], v[136:137]
	v_add_f64_e64 v[185:186], v[124:125], -v[94:95]
	v_add_f64_e32 v[189:190], v[165:166], v[138:139]
	v_add_f64_e64 v[163:164], v[120:121], -v[163:164]
	v_add_f64_e64 v[165:166], v[122:123], -v[165:166]
	;; [unrolled: 1-line block ×3, first 2 shown]
	v_add_f64_e32 v[171:172], v[140:141], v[128:129]
	v_add_f64_e32 v[173:174], v[142:143], v[130:131]
	v_add_f64_e64 v[130:131], v[88:89], -v[100:101]
	v_add_f64_e64 v[128:129], v[90:91], -v[102:103]
	;; [unrolled: 1-line block ×5, first 2 shown]
	v_add_f64_e32 v[96:97], v[104:105], v[96:97]
	v_add_f64_e32 v[98:99], v[106:107], v[98:99]
	v_mul_f64_e32 v[108:109], s[14:15], v[108:109]
	v_mul_f64_e32 v[110:111], s[14:15], v[110:111]
	;; [unrolled: 1-line block ×4, first 2 shown]
	v_add_f64_e64 v[134:135], v[104:105], -v[149:150]
	v_mul_f64_e32 v[104:105], s[2:3], v[167:168]
	v_mul_f64_e32 v[106:107], s[2:3], v[169:170]
	;; [unrolled: 1-line block ×5, first 2 shown]
	v_add_f64_e32 v[88:89], v[116:117], v[171:172]
	v_add_f64_e32 v[90:91], v[118:119], v[173:174]
	;; [unrolled: 1-line block ×4, first 2 shown]
	v_add_f64_e64 v[161:162], v[92:93], -v[130:131]
	v_add_f64_e64 v[140:141], v[94:95], -v[128:129]
	v_mul_f64_e32 v[132:133], s[14:15], v[100:101]
	v_mul_f64_e32 v[138:139], s[14:15], v[102:103]
	;; [unrolled: 1-line block ×3, first 2 shown]
	v_add_f64_e32 v[100:101], v[112:113], v[96:97]
	v_add_f64_e32 v[102:103], v[114:115], v[98:99]
	s_mov_b32 s14, 0x5476071b
	s_mov_b32 s15, 0x3fe77f67
	s_wait_alu 0xfffe
	s_mov_b32 s16, s14
	v_add_f64_e32 v[92:93], v[187:188], v[120:121]
	v_add_f64_e32 v[94:95], v[189:190], v[122:123]
	v_fma_f64 v[112:113], v[181:182], s[8:9], v[108:109]
	v_fma_f64 v[114:115], v[183:184], s[8:9], v[110:111]
	;; [unrolled: 1-line block ×4, first 2 shown]
	v_fma_f64 v[167:168], v[167:168], s[2:3], -v[191:192]
	v_fma_f64 v[169:170], v[169:170], s[2:3], -v[193:194]
	;; [unrolled: 1-line block ×4, first 2 shown]
	s_wait_alu 0xfffe
	v_fma_f64 v[108:109], v[159:160], s[16:17], -v[108:109]
	v_fma_f64 v[110:111], v[157:158], s[16:17], -v[110:111]
	;; [unrolled: 1-line block ×4, first 2 shown]
	s_mov_b32 s18, 0x37c3f68c
	s_mov_b32 s19, 0xbfdc38aa
	v_fma_f64 v[181:182], v[171:172], s[20:21], v[88:89]
	v_fma_f64 v[183:184], v[173:174], s[20:21], v[90:91]
	v_add_f64_e32 v[173:174], v[116:117], v[126:127]
	v_add_f64_e32 v[171:172], v[118:119], v[124:125]
	v_fma_f64 v[187:188], v[140:141], s[12:13], v[136:137]
	v_fma_f64 v[116:117], v[134:135], s[8:9], v[132:133]
	;; [unrolled: 1-line block ×6, first 2 shown]
	s_wait_alu 0xfffe
	v_fma_f64 v[120:121], v[92:93], s[18:19], v[120:121]
	v_fma_f64 v[122:123], v[94:95], s[18:19], v[122:123]
	;; [unrolled: 1-line block ×6, first 2 shown]
	v_add_f64_e32 v[193:194], v[112:113], v[181:182]
	v_add_f64_e32 v[195:196], v[114:115], v[183:184]
	;; [unrolled: 1-line block ×6, first 2 shown]
	v_fma_f64 v[157:158], v[171:172], s[18:19], v[187:188]
	v_fma_f64 v[167:168], v[173:174], s[18:19], v[185:186]
	v_add_f64_e32 v[159:160], v[116:117], v[163:164]
	v_add_f64_e32 v[169:170], v[118:119], v[165:166]
	;; [unrolled: 1-line block ×3, first 2 shown]
	v_add_f64_e64 v[98:99], v[195:196], -v[120:121]
	v_add_f64_e32 v[108:109], v[197:198], v[106:107]
	v_add_f64_e64 v[110:111], v[199:200], -v[104:105]
	v_add_f64_e64 v[92:93], v[112:113], -v[191:192]
	v_add_f64_e32 v[94:95], v[189:190], v[114:115]
	v_add_f64_e32 v[112:113], v[112:113], v[191:192]
	v_add_f64_e64 v[114:115], v[114:115], -v[189:190]
	v_add_f64_e64 v[116:117], v[197:198], -v[106:107]
	v_add_f64_e32 v[118:119], v[104:105], v[199:200]
	v_add_f64_e64 v[104:105], v[193:194], -v[122:123]
	v_add_f64_e32 v[106:107], v[120:121], v[195:196]
	v_add_f64_e32 v[120:121], v[159:160], v[157:158]
	v_add_f64_e64 v[122:123], v[169:170], -v[167:168]
	ds_store_b128 v180, v[88:91]
	ds_store_b128 v180, v[96:99] offset:16
	ds_store_b128 v180, v[108:111] offset:32
	;; [unrolled: 1-line block ×6, first 2 shown]
	s_and_saveexec_b32 s1, vcc_lo
	s_cbranch_execz .LBB0_17
; %bb.16:
	v_add_f64_e64 v[126:127], v[130:131], -v[126:127]
	v_add_f64_e64 v[130:131], v[153:154], -v[151:152]
	v_mul_f64_e32 v[151:152], s[8:9], v[155:156]
	v_mul_f64_e32 v[153:154], s[12:13], v[161:162]
	v_add_f64_e64 v[147:148], v[149:150], -v[147:148]
	v_add_f64_e64 v[124:125], v[128:129], -v[124:125]
	v_mul_f64_e32 v[128:129], s[8:9], v[134:135]
	v_mul_f64_e32 v[134:135], s[12:13], v[140:141]
	s_mov_b32 s9, 0x3febfeb5
	s_mov_b32 s8, s2
	v_mul_f64_e32 v[140:141], s[18:19], v[173:174]
	v_mul_f64_e32 v[149:150], s[18:19], v[171:172]
	s_wait_alu 0xfffe
	v_fma_f64 v[142:143], v[126:127], s[8:9], -v[142:143]
	v_fma_f64 v[138:139], v[130:131], s[16:17], -v[138:139]
	;; [unrolled: 1-line block ×8, first 2 shown]
	v_add_f64_e32 v[142:143], v[140:141], v[142:143]
	v_add_f64_e32 v[147:148], v[138:139], v[165:166]
	;; [unrolled: 1-line block ×10, first 2 shown]
	v_add_f64_e64 v[142:143], v[147:148], -v[142:143]
	v_add_f64_e64 v[134:135], v[138:139], -v[140:141]
	v_add_f64_e32 v[138:139], v[140:141], v[138:139]
	v_add_f64_e32 v[140:141], v[151:152], v[153:154]
	v_lshlrev_b32_e32 v147, 4, v179
	v_add_f64_e64 v[136:137], v[128:129], -v[124:125]
	v_add_f64_e32 v[132:133], v[128:129], v[124:125]
	v_add_f64_e64 v[128:129], v[151:152], -v[153:154]
	v_add_f64_e64 v[124:125], v[159:160], -v[157:158]
	ds_store_b128 v147, v[100:103]
	ds_store_b128 v147, v[120:123] offset:16
	ds_store_b128 v147, v[140:143] offset:32
	;; [unrolled: 1-line block ×6, first 2 shown]
.LBB0_17:
	s_wait_alu 0xfffe
	s_or_b32 exec_lo, exec_lo, s1
	global_wb scope:SCOPE_SE
	s_wait_dscnt 0x0
	s_barrier_signal -1
	s_barrier_wait -1
	global_inv scope:SCOPE_SE
	s_and_saveexec_b32 s1, s0
	s_cbranch_execz .LBB0_19
; %bb.18:
	ds_load_b128 v[88:91], v175
	ds_load_b128 v[96:99], v175 offset:896
	ds_load_b128 v[108:111], v175 offset:1792
	;; [unrolled: 1-line block ×8, first 2 shown]
.LBB0_19:
	s_wait_alu 0xfffe
	s_or_b32 exec_lo, exec_lo, s1
	global_wb scope:SCOPE_SE
	s_wait_dscnt 0x0
	s_barrier_signal -1
	s_barrier_wait -1
	global_inv scope:SCOPE_SE
	s_and_saveexec_b32 s8, s0
	s_cbranch_execz .LBB0_21
; %bb.20:
	v_mul_f64_e32 v[124:125], v[54:55], v[114:115]
	v_mul_f64_e32 v[126:127], v[58:59], v[118:119]
	;; [unrolled: 1-line block ×12, first 2 shown]
	s_mov_b32 s0, 0x8c811c17
	s_mov_b32 s1, 0x3fef838b
	;; [unrolled: 1-line block ×8, first 2 shown]
	v_fma_f64 v[112:113], v[52:53], v[112:113], v[124:125]
	v_fma_f64 v[116:117], v[56:57], v[116:117], v[126:127]
	v_fma_f64 v[56:57], v[56:57], v[118:119], -v[58:59]
	v_fma_f64 v[52:53], v[52:53], v[114:115], -v[54:55]
	v_fma_f64 v[54:55], v[44:45], v[108:109], v[128:129]
	v_fma_f64 v[58:59], v[48:49], v[102:103], -v[130:131]
	v_fma_f64 v[44:45], v[44:45], v[110:111], -v[46:47]
	;; [unrolled: 3-line block ×3, first 2 shown]
	v_fma_f64 v[28:29], v[28:29], v[96:97], v[30:31]
	v_fma_f64 v[30:31], v[40:41], v[120:121], v[42:43]
	v_mul_f64_e32 v[40:41], v[34:35], v[94:95]
	v_mul_f64_e32 v[42:43], v[38:39], v[104:105]
	;; [unrolled: 1-line block ×4, first 2 shown]
	v_add_f64_e64 v[98:99], v[112:113], -v[116:117]
	v_add_f64_e32 v[108:109], v[112:113], v[116:117]
	v_add_f64_e64 v[100:101], v[52:53], -v[56:57]
	v_add_f64_e32 v[96:97], v[58:59], v[44:45]
	v_add_f64_e32 v[102:103], v[46:47], v[54:55]
	v_add_f64_e64 v[46:47], v[54:55], -v[46:47]
	v_add_f64_e64 v[44:45], v[44:45], -v[58:59]
	v_add_f64_e32 v[54:55], v[52:53], v[56:57]
	v_add_f64_e32 v[110:111], v[48:49], v[50:51]
	;; [unrolled: 1-line block ×3, first 2 shown]
	v_add_f64_e64 v[28:29], v[28:29], -v[30:31]
	v_add_f64_e64 v[30:31], v[50:51], -v[48:49]
	v_fma_f64 v[40:41], v[32:33], v[92:93], v[40:41]
	v_fma_f64 v[42:43], v[36:37], v[106:107], -v[42:43]
	v_fma_f64 v[32:33], v[32:33], v[94:95], -v[34:35]
	v_fma_f64 v[34:35], v[36:37], v[104:105], v[38:39]
	s_wait_alu 0xfffe
	v_mul_f64_e32 v[58:59], s[0:1], v[98:99]
	v_mul_f64_e32 v[48:49], s[2:3], v[98:99]
	;; [unrolled: 1-line block ×4, first 2 shown]
	v_fma_f64 v[92:93], v[108:109], s[12:13], v[88:89]
	v_fma_f64 v[36:37], v[96:97], s[12:13], v[90:91]
	;; [unrolled: 1-line block ×5, first 2 shown]
	v_add_f64_e32 v[128:129], v[96:97], v[110:111]
	v_add_f64_e32 v[130:131], v[102:103], v[118:119]
	;; [unrolled: 1-line block ×5, first 2 shown]
	v_add_f64_e64 v[34:35], v[40:41], -v[34:35]
	v_add_f64_e64 v[32:33], v[32:33], -v[42:43]
	v_fma_f64 v[58:59], v[46:47], s[2:3], -v[58:59]
	v_fma_f64 v[40:41], v[28:29], s[0:1], v[48:49]
	v_fma_f64 v[106:107], v[44:45], s[2:3], -v[114:115]
	s_mov_b32 s3, 0x3fe491b7
	v_fma_f64 v[114:115], v[118:119], s[12:13], v[88:89]
	s_wait_alu 0xfffe
	v_mul_f64_e32 v[120:121], s[2:3], v[28:29]
	v_mul_f64_e32 v[122:123], s[2:3], v[30:31]
	s_mov_b32 s2, 0x7e0b738b
	s_mov_b32 s3, 0x3fc63a1a
	;; [unrolled: 1-line block ×3, first 2 shown]
	s_wait_alu 0xfffe
	v_fma_f64 v[36:37], v[54:55], s[2:3], v[36:37]
	v_fma_f64 v[38:39], v[108:109], s[2:3], v[38:39]
	;; [unrolled: 1-line block ×6, first 2 shown]
	v_add_f64_e32 v[136:137], v[124:125], v[128:129]
	v_add_f64_e32 v[138:139], v[126:127], v[130:131]
	;; [unrolled: 1-line block ×5, first 2 shown]
	s_mov_b32 s13, 0x3fd5e3a8
	v_fma_f64 v[94:95], v[102:103], s[2:3], v[114:115]
	v_fma_f64 v[104:105], v[46:47], s[0:1], v[120:121]
	;; [unrolled: 1-line block ×3, first 2 shown]
	s_mov_b32 s0, 0xe8584cab
	s_mov_b32 s1, 0x3febb67a
	;; [unrolled: 1-line block ×3, first 2 shown]
	s_wait_alu 0xfffe
	s_mov_b32 s2, s0
	v_add_f64_e32 v[120:121], v[98:99], v[28:29]
	v_add_f64_e32 v[122:123], v[90:91], v[124:125]
	v_fma_f64 v[58:59], v[34:35], s[0:1], v[58:59]
	v_fma_f64 v[36:37], v[124:125], -0.5, v[36:37]
	v_fma_f64 v[106:107], v[32:33], s[0:1], v[106:107]
	v_fma_f64 v[38:39], v[126:127], -0.5, v[38:39]
	s_wait_alu 0xfffe
	v_fma_f64 v[40:41], v[34:35], s[2:3], v[40:41]
	v_fma_f64 v[42:43], v[124:125], -0.5, v[42:43]
	v_fma_f64 v[48:49], v[126:127], -0.5, v[48:49]
	v_fma_f64 v[50:51], v[32:33], s[2:3], v[50:51]
	v_fma_f64 v[92:93], v[124:125], -0.5, v[92:93]
	v_add_f64_e32 v[52:53], v[52:53], v[136:137]
	v_add_f64_e32 v[112:113], v[112:113], v[138:139]
	v_fma_f64 v[94:95], v[126:127], -0.5, v[94:95]
	v_fma_f64 v[34:35], v[34:35], s[0:1], v[104:105]
	v_fma_f64 v[32:33], v[32:33], s[0:1], v[114:115]
	v_add_f64_e64 v[114:115], v[134:135], -v[44:45]
	v_add_f64_e64 v[104:105], v[120:121], -v[46:47]
	v_fma_f64 v[120:121], v[128:129], -0.5, v[122:123]
	v_fma_f64 v[122:123], v[130:131], -0.5, v[132:133]
	v_fma_f64 v[58:59], v[28:29], s[12:13], v[58:59]
	v_fma_f64 v[36:37], v[110:111], s[14:15], v[36:37]
	;; [unrolled: 1-line block ×9, first 2 shown]
	v_add_f64_e32 v[50:51], v[56:57], v[52:53]
	v_add_f64_e32 v[52:53], v[116:117], v[112:113]
	v_fma_f64 v[46:47], v[108:109], s[14:15], v[94:95]
	v_fma_f64 v[92:93], v[98:99], s[12:13], v[34:35]
	;; [unrolled: 1-line block ×3, first 2 shown]
	v_mul_f64_e32 v[54:55], s[0:1], v[114:115]
	v_mul_f64_e32 v[48:49], s[0:1], v[104:105]
	v_fma_f64 v[30:31], v[104:105], s[0:1], v[120:121]
	v_fma_f64 v[28:29], v[114:115], s[2:3], v[122:123]
	v_add_f64_e32 v[34:35], v[58:59], v[36:37]
	v_add_f64_e64 v[32:33], v[38:39], -v[106:107]
	v_add_f64_e32 v[38:39], v[110:111], v[40:41]
	v_add_f64_e64 v[36:37], v[42:43], -v[96:97]
	;; [unrolled: 2-line block ×3, first 2 shown]
	v_add_f64_e32 v[46:47], v[90:91], v[50:51]
	v_add_f64_e32 v[44:45], v[88:89], v[52:53]
	v_fma_f64 v[50:51], v[48:49], -2.0, v[30:31]
	v_fma_f64 v[48:49], v[54:55], 2.0, v[28:29]
	v_fma_f64 v[54:55], v[58:59], -2.0, v[34:35]
	v_fma_f64 v[52:53], v[106:107], 2.0, v[32:33]
	;; [unrolled: 2-line block ×4, first 2 shown]
	v_mul_u32_u24_e32 v92, 63, v178
	s_delay_alu instid0(VALU_DEP_1)
	v_add_lshl_u32 v92, v92, v177, 4
	ds_store_b128 v92, v[44:47]
	ds_store_b128 v92, v[40:43] offset:112
	ds_store_b128 v92, v[36:39] offset:224
	ds_store_b128 v92, v[28:31] offset:336
	ds_store_b128 v92, v[32:35] offset:448
	ds_store_b128 v92, v[52:55] offset:560
	ds_store_b128 v92, v[48:51] offset:672
	ds_store_b128 v92, v[56:59] offset:784
	ds_store_b128 v92, v[88:91] offset:896
.LBB0_21:
	s_wait_alu 0xfffe
	s_or_b32 exec_lo, exec_lo, s8
	global_wb scope:SCOPE_SE
	s_wait_dscnt 0x0
	s_barrier_signal -1
	s_barrier_wait -1
	global_inv scope:SCOPE_SE
	ds_load_b128 v[28:31], v175 offset:2016
	ds_load_b128 v[32:35], v175 offset:4032
	;; [unrolled: 1-line block ×6, first 2 shown]
	s_mov_b32 s2, 0x10410410
	s_mov_b32 s3, 0x3f604104
	s_wait_dscnt 0x5
	v_mul_f64_e32 v[52:53], v[70:71], v[30:31]
	v_mul_f64_e32 v[54:55], v[70:71], v[28:29]
	s_wait_dscnt 0x4
	v_mul_f64_e32 v[56:57], v[66:67], v[34:35]
	v_mul_f64_e32 v[58:59], v[66:67], v[32:33]
	;; [unrolled: 3-line block ×6, first 2 shown]
	v_fma_f64 v[52:53], v[68:69], v[28:29], v[52:53]
	v_fma_f64 v[54:55], v[68:69], v[30:31], -v[54:55]
	v_fma_f64 v[56:57], v[64:65], v[32:33], v[56:57]
	v_fma_f64 v[58:59], v[64:65], v[34:35], -v[58:59]
	;; [unrolled: 2-line block ×6, first 2 shown]
	ds_load_b128 v[28:31], v175
	ds_load_b128 v[32:35], v175 offset:1008
	global_wb scope:SCOPE_SE
	s_wait_dscnt 0x0
	s_barrier_signal -1
	s_barrier_wait -1
	global_inv scope:SCOPE_SE
	v_mad_co_u64_u32 v[70:71], null, s6, v146, 0
	v_add_f64_e64 v[56:57], v[28:29], -v[56:57]
	v_add_f64_e64 v[58:59], v[30:31], -v[58:59]
	;; [unrolled: 1-line block ×8, first 2 shown]
	v_fma_f64 v[50:51], v[28:29], 2.0, -v[56:57]
	v_fma_f64 v[64:65], v[30:31], 2.0, -v[58:59]
	;; [unrolled: 1-line block ×4, first 2 shown]
	v_add_f64_e32 v[28:29], v[56:57], v[38:39]
	v_add_f64_e64 v[30:31], v[58:59], -v[36:37]
	v_fma_f64 v[66:67], v[32:33], 2.0, -v[60:61]
	v_fma_f64 v[68:69], v[34:35], 2.0, -v[62:63]
	;; [unrolled: 1-line block ×4, first 2 shown]
	v_add_f64_e32 v[32:33], v[60:61], v[46:47]
	v_add_f64_e64 v[36:37], v[50:51], -v[48:49]
	v_add_f64_e64 v[38:39], v[64:65], -v[52:53]
	v_fma_f64 v[46:47], v[58:59], 2.0, -v[30:31]
	v_add_f64_e64 v[40:41], v[66:67], -v[34:35]
	v_add_f64_e64 v[42:43], v[68:69], -v[42:43]
	;; [unrolled: 1-line block ×3, first 2 shown]
	v_fma_f64 v[44:45], v[56:57], 2.0, -v[28:29]
	v_fma_f64 v[48:49], v[60:61], 2.0, -v[32:33]
	;; [unrolled: 1-line block ×7, first 2 shown]
	ds_store_b128 v175, v[36:39] offset:2016
	ds_store_b128 v175, v[28:31] offset:3024
	;; [unrolled: 1-line block ×4, first 2 shown]
	ds_store_b128 v175, v[52:55]
	ds_store_b128 v175, v[44:47] offset:1008
	ds_store_b128 v175, v[56:59] offset:4032
	;; [unrolled: 1-line block ×3, first 2 shown]
	global_wb scope:SCOPE_SE
	s_wait_dscnt 0x0
	s_barrier_signal -1
	s_barrier_wait -1
	global_inv scope:SCOPE_SE
	ds_load_b128 v[28:31], v175 offset:4032
	ds_load_b128 v[32:35], v175 offset:5040
	;; [unrolled: 1-line block ×4, first 2 shown]
	s_wait_dscnt 0x3
	v_mul_f64_e32 v[44:45], v[74:75], v[30:31]
	v_mul_f64_e32 v[46:47], v[74:75], v[28:29]
	s_wait_dscnt 0x2
	v_mul_f64_e32 v[48:49], v[78:79], v[34:35]
	v_mul_f64_e32 v[50:51], v[78:79], v[32:33]
	;; [unrolled: 3-line block ×4, first 2 shown]
	v_fma_f64 v[44:45], v[72:73], v[28:29], v[44:45]
	v_fma_f64 v[46:47], v[72:73], v[30:31], -v[46:47]
	v_fma_f64 v[48:49], v[76:77], v[32:33], v[48:49]
	v_fma_f64 v[50:51], v[76:77], v[34:35], -v[50:51]
	;; [unrolled: 2-line block ×4, first 2 shown]
	ds_load_b128 v[28:31], v175
	ds_load_b128 v[32:35], v175 offset:1008
	ds_load_b128 v[36:39], v175 offset:2016
	;; [unrolled: 1-line block ×3, first 2 shown]
	v_mad_co_u64_u32 v[72:73], null, s4, v176, 0
	s_wait_dscnt 0x3
	v_add_f64_e64 v[44:45], v[28:29], -v[44:45]
	v_add_f64_e64 v[46:47], v[30:31], -v[46:47]
	s_wait_dscnt 0x2
	v_add_f64_e64 v[48:49], v[32:33], -v[48:49]
	v_add_f64_e64 v[50:51], v[34:35], -v[50:51]
	;; [unrolled: 3-line block ×4, first 2 shown]
	v_fma_f64 v[28:29], v[28:29], 2.0, -v[44:45]
	v_fma_f64 v[30:31], v[30:31], 2.0, -v[46:47]
	;; [unrolled: 1-line block ×8, first 2 shown]
	ds_store_b128 v175, v[44:47] offset:4032
	ds_store_b128 v175, v[48:51] offset:5040
	;; [unrolled: 1-line block ×4, first 2 shown]
	ds_store_b128 v175, v[28:31]
	ds_store_b128 v175, v[32:35] offset:1008
	ds_store_b128 v175, v[36:39] offset:2016
	;; [unrolled: 1-line block ×3, first 2 shown]
	global_wb scope:SCOPE_SE
	s_wait_dscnt 0x0
	s_barrier_signal -1
	s_barrier_wait -1
	global_inv scope:SCOPE_SE
	ds_load_b128 v[28:31], v175
	ds_load_b128 v[32:35], v175 offset:1152
	ds_load_b128 v[36:39], v175 offset:2304
	;; [unrolled: 1-line block ×6, first 2 shown]
	s_wait_dscnt 0x6
	v_mul_f64_e32 v[56:57], v[2:3], v[30:31]
	v_mul_f64_e32 v[2:3], v[2:3], v[28:29]
	s_wait_dscnt 0x5
	v_mul_f64_e32 v[58:59], v[6:7], v[34:35]
	v_mul_f64_e32 v[6:7], v[6:7], v[32:33]
	;; [unrolled: 3-line block ×7, first 2 shown]
	v_fma_f64 v[28:29], v[0:1], v[28:29], v[56:57]
	v_fma_f64 v[0:1], v[0:1], v[30:31], -v[2:3]
	v_fma_f64 v[30:31], v[4:5], v[32:33], v[58:59]
	v_fma_f64 v[32:33], v[4:5], v[34:35], -v[6:7]
	;; [unrolled: 2-line block ×7, first 2 shown]
	v_mad_co_u64_u32 v[3:4], null, s7, v146, v[71:72]
	v_mov_b32_e32 v2, v73
	s_mul_u64 s[6:7], s[4:5], 0x48
	s_wait_alu 0xfffe
	s_lshl_b64 s[6:7], s[6:7], 4
	s_delay_alu instid0(VALU_DEP_2) | instskip(SKIP_1) | instid1(VALU_DEP_2)
	v_mov_b32_e32 v71, v3
	v_mad_co_u64_u32 v[4:5], null, s5, v176, v[2:3]
	v_lshlrev_b64_e32 v[2:3], 4, v[70:71]
	s_delay_alu instid0(VALU_DEP_2) | instskip(NEXT) | instid1(VALU_DEP_2)
	v_mov_b32_e32 v73, v4
	v_add_co_u32 v52, s0, s10, v2
	s_wait_alu 0xf1ff
	s_delay_alu instid0(VALU_DEP_3) | instskip(NEXT) | instid1(VALU_DEP_3)
	v_add_co_ci_u32_e64 v53, s0, s11, v3, s0
	v_lshlrev_b64_e32 v[50:51], 4, v[72:73]
	v_mul_f64_e32 v[2:3], s[2:3], v[28:29]
	v_mul_f64_e32 v[4:5], s[2:3], v[0:1]
	;; [unrolled: 1-line block ×5, first 2 shown]
	v_add_co_u32 v30, s0, v52, v50
	v_mul_f64_e32 v[12:13], s[2:3], v[36:37]
	v_mul_f64_e32 v[14:15], s[2:3], v[38:39]
	;; [unrolled: 1-line block ×3, first 2 shown]
	s_wait_alu 0xf1ff
	v_add_co_ci_u32_e64 v31, s0, v53, v51, s0
	v_mul_f64_e32 v[18:19], s[2:3], v[42:43]
	v_mul_f64_e32 v[20:21], s[2:3], v[20:21]
	;; [unrolled: 1-line block ×6, first 2 shown]
	s_wait_alu 0xfffe
	v_add_co_u32 v32, s0, v30, s6
	s_wait_alu 0xf1ff
	v_add_co_ci_u32_e64 v33, s0, s7, v31, s0
	s_delay_alu instid0(VALU_DEP_2) | instskip(SKIP_1) | instid1(VALU_DEP_2)
	v_add_co_u32 v34, s0, v32, s6
	s_wait_alu 0xf1ff
	v_add_co_ci_u32_e64 v35, s0, s7, v33, s0
	s_delay_alu instid0(VALU_DEP_2) | instskip(SKIP_1) | instid1(VALU_DEP_2)
	;; [unrolled: 4-line block ×5, first 2 shown]
	v_add_co_u32 v0, s0, v40, s6
	s_wait_alu 0xf1ff
	v_add_co_ci_u32_e64 v1, s0, s7, v41, s0
	s_clause 0x4
	global_store_b128 v[30:31], v[2:5], off
	global_store_b128 v[32:33], v[6:9], off
	;; [unrolled: 1-line block ×7, first 2 shown]
	s_and_b32 exec_lo, exec_lo, vcc_lo
	s_cbranch_execz .LBB0_23
; %bb.22:
	s_clause 0x4
	global_load_b128 v[2:5], v[144:145], off offset:1008
	global_load_b128 v[6:9], v[144:145], off offset:2160
	;; [unrolled: 1-line block ×5, first 2 shown]
	ds_load_b128 v[22:25], v175 offset:1008
	ds_load_b128 v[26:29], v175 offset:2160
	;; [unrolled: 1-line block ×6, first 2 shown]
	v_mad_co_u64_u32 v[0:1], null, 0xffffe8f0, s4, v[0:1]
	s_mul_i32 s0, s5, 0xffffe8f0
	s_wait_alu 0xfffe
	s_sub_co_i32 s0, s0, s4
	s_wait_alu 0xfffe
	s_delay_alu instid0(VALU_DEP_1)
	v_add_nc_u32_e32 v1, s0, v1
	s_wait_loadcnt_dscnt 0x405
	v_mul_f64_e32 v[46:47], v[24:25], v[4:5]
	v_mul_f64_e32 v[4:5], v[22:23], v[4:5]
	s_wait_loadcnt_dscnt 0x304
	v_mul_f64_e32 v[48:49], v[28:29], v[8:9]
	v_mul_f64_e32 v[8:9], v[26:27], v[8:9]
	;; [unrolled: 3-line block ×5, first 2 shown]
	v_fma_f64 v[22:23], v[22:23], v[2:3], v[46:47]
	v_fma_f64 v[4:5], v[2:3], v[24:25], -v[4:5]
	v_fma_f64 v[24:25], v[26:27], v[6:7], v[48:49]
	v_fma_f64 v[8:9], v[6:7], v[28:29], -v[8:9]
	;; [unrolled: 2-line block ×5, first 2 shown]
	v_mul_f64_e32 v[2:3], s[2:3], v[22:23]
	v_mul_f64_e32 v[4:5], s[2:3], v[4:5]
	;; [unrolled: 1-line block ×10, first 2 shown]
	v_add_co_u32 v22, vcc_lo, v0, s6
	s_wait_alu 0xfffd
	v_add_co_ci_u32_e32 v23, vcc_lo, s7, v1, vcc_lo
	s_delay_alu instid0(VALU_DEP_2) | instskip(SKIP_1) | instid1(VALU_DEP_2)
	v_add_co_u32 v24, vcc_lo, v22, s6
	s_wait_alu 0xfffd
	v_add_co_ci_u32_e32 v25, vcc_lo, s7, v23, vcc_lo
	s_delay_alu instid0(VALU_DEP_2) | instskip(SKIP_1) | instid1(VALU_DEP_2)
	v_add_co_u32 v26, vcc_lo, v24, s6
	s_wait_alu 0xfffd
	v_add_co_ci_u32_e32 v27, vcc_lo, s7, v25, vcc_lo
	s_delay_alu instid0(VALU_DEP_2) | instskip(SKIP_1) | instid1(VALU_DEP_2)
	v_add_co_u32 v28, vcc_lo, v26, s6
	s_wait_alu 0xfffd
	v_add_co_ci_u32_e32 v29, vcc_lo, s7, v27, vcc_lo
	global_store_b128 v[0:1], v[2:5], off
	global_store_b128 v[22:23], v[6:9], off
	;; [unrolled: 1-line block ×5, first 2 shown]
	global_load_b128 v[0:3], v[144:145], off offset:6768
	v_add_co_u32 v8, vcc_lo, v28, s6
	s_wait_alu 0xfffd
	v_add_co_ci_u32_e32 v9, vcc_lo, s7, v29, vcc_lo
	s_wait_loadcnt_dscnt 0x0
	v_mul_f64_e32 v[4:5], v[44:45], v[2:3]
	v_mul_f64_e32 v[2:3], v[42:43], v[2:3]
	s_delay_alu instid0(VALU_DEP_2) | instskip(NEXT) | instid1(VALU_DEP_2)
	v_fma_f64 v[4:5], v[42:43], v[0:1], v[4:5]
	v_fma_f64 v[2:3], v[0:1], v[44:45], -v[2:3]
	s_delay_alu instid0(VALU_DEP_2) | instskip(NEXT) | instid1(VALU_DEP_2)
	v_mul_f64_e32 v[0:1], s[2:3], v[4:5]
	v_mul_f64_e32 v[2:3], s[2:3], v[2:3]
	ds_load_b128 v[4:7], v175 offset:7920
	global_store_b128 v[8:9], v[0:3], off
	global_load_b128 v[0:3], v[144:145], off offset:7920
	s_wait_loadcnt_dscnt 0x0
	v_mul_f64_e32 v[10:11], v[6:7], v[2:3]
	v_mul_f64_e32 v[2:3], v[4:5], v[2:3]
	s_delay_alu instid0(VALU_DEP_2) | instskip(NEXT) | instid1(VALU_DEP_2)
	v_fma_f64 v[4:5], v[4:5], v[0:1], v[10:11]
	v_fma_f64 v[2:3], v[0:1], v[6:7], -v[2:3]
	s_delay_alu instid0(VALU_DEP_2) | instskip(NEXT) | instid1(VALU_DEP_2)
	v_mul_f64_e32 v[0:1], s[2:3], v[4:5]
	v_mul_f64_e32 v[2:3], s[2:3], v[2:3]
	v_add_co_u32 v4, vcc_lo, v8, s6
	s_wait_alu 0xfffd
	v_add_co_ci_u32_e32 v5, vcc_lo, s7, v9, vcc_lo
	global_store_b128 v[4:5], v[0:3], off
.LBB0_23:
	s_nop 0
	s_sendmsg sendmsg(MSG_DEALLOC_VGPRS)
	s_endpgm
	.section	.rodata,"a",@progbits
	.p2align	6, 0x0
	.amdhsa_kernel bluestein_single_back_len504_dim1_dp_op_CI_CI
		.amdhsa_group_segment_fixed_size 8064
		.amdhsa_private_segment_fixed_size 0
		.amdhsa_kernarg_size 104
		.amdhsa_user_sgpr_count 2
		.amdhsa_user_sgpr_dispatch_ptr 0
		.amdhsa_user_sgpr_queue_ptr 0
		.amdhsa_user_sgpr_kernarg_segment_ptr 1
		.amdhsa_user_sgpr_dispatch_id 0
		.amdhsa_user_sgpr_private_segment_size 0
		.amdhsa_wavefront_size32 1
		.amdhsa_uses_dynamic_stack 0
		.amdhsa_enable_private_segment 0
		.amdhsa_system_sgpr_workgroup_id_x 1
		.amdhsa_system_sgpr_workgroup_id_y 0
		.amdhsa_system_sgpr_workgroup_id_z 0
		.amdhsa_system_sgpr_workgroup_info 0
		.amdhsa_system_vgpr_workitem_id 0
		.amdhsa_next_free_vgpr 201
		.amdhsa_next_free_sgpr 26
		.amdhsa_reserve_vcc 1
		.amdhsa_float_round_mode_32 0
		.amdhsa_float_round_mode_16_64 0
		.amdhsa_float_denorm_mode_32 3
		.amdhsa_float_denorm_mode_16_64 3
		.amdhsa_fp16_overflow 0
		.amdhsa_workgroup_processor_mode 1
		.amdhsa_memory_ordered 1
		.amdhsa_forward_progress 0
		.amdhsa_round_robin_scheduling 0
		.amdhsa_exception_fp_ieee_invalid_op 0
		.amdhsa_exception_fp_denorm_src 0
		.amdhsa_exception_fp_ieee_div_zero 0
		.amdhsa_exception_fp_ieee_overflow 0
		.amdhsa_exception_fp_ieee_underflow 0
		.amdhsa_exception_fp_ieee_inexact 0
		.amdhsa_exception_int_div_zero 0
	.end_amdhsa_kernel
	.text
.Lfunc_end0:
	.size	bluestein_single_back_len504_dim1_dp_op_CI_CI, .Lfunc_end0-bluestein_single_back_len504_dim1_dp_op_CI_CI
                                        ; -- End function
	.section	.AMDGPU.csdata,"",@progbits
; Kernel info:
; codeLenInByte = 11728
; NumSgprs: 28
; NumVgprs: 201
; ScratchSize: 0
; MemoryBound: 0
; FloatMode: 240
; IeeeMode: 1
; LDSByteSize: 8064 bytes/workgroup (compile time only)
; SGPRBlocks: 3
; VGPRBlocks: 25
; NumSGPRsForWavesPerEU: 28
; NumVGPRsForWavesPerEU: 201
; Occupancy: 7
; WaveLimiterHint : 1
; COMPUTE_PGM_RSRC2:SCRATCH_EN: 0
; COMPUTE_PGM_RSRC2:USER_SGPR: 2
; COMPUTE_PGM_RSRC2:TRAP_HANDLER: 0
; COMPUTE_PGM_RSRC2:TGID_X_EN: 1
; COMPUTE_PGM_RSRC2:TGID_Y_EN: 0
; COMPUTE_PGM_RSRC2:TGID_Z_EN: 0
; COMPUTE_PGM_RSRC2:TIDIG_COMP_CNT: 0
	.text
	.p2alignl 7, 3214868480
	.fill 96, 4, 3214868480
	.type	__hip_cuid_91988b6f4e976e3f,@object ; @__hip_cuid_91988b6f4e976e3f
	.section	.bss,"aw",@nobits
	.globl	__hip_cuid_91988b6f4e976e3f
__hip_cuid_91988b6f4e976e3f:
	.byte	0                               ; 0x0
	.size	__hip_cuid_91988b6f4e976e3f, 1

	.ident	"AMD clang version 19.0.0git (https://github.com/RadeonOpenCompute/llvm-project roc-6.4.0 25133 c7fe45cf4b819c5991fe208aaa96edf142730f1d)"
	.section	".note.GNU-stack","",@progbits
	.addrsig
	.addrsig_sym __hip_cuid_91988b6f4e976e3f
	.amdgpu_metadata
---
amdhsa.kernels:
  - .args:
      - .actual_access:  read_only
        .address_space:  global
        .offset:         0
        .size:           8
        .value_kind:     global_buffer
      - .actual_access:  read_only
        .address_space:  global
        .offset:         8
        .size:           8
        .value_kind:     global_buffer
      - .actual_access:  read_only
        .address_space:  global
        .offset:         16
        .size:           8
        .value_kind:     global_buffer
      - .actual_access:  read_only
        .address_space:  global
        .offset:         24
        .size:           8
        .value_kind:     global_buffer
      - .actual_access:  read_only
        .address_space:  global
        .offset:         32
        .size:           8
        .value_kind:     global_buffer
      - .offset:         40
        .size:           8
        .value_kind:     by_value
      - .address_space:  global
        .offset:         48
        .size:           8
        .value_kind:     global_buffer
      - .address_space:  global
        .offset:         56
        .size:           8
        .value_kind:     global_buffer
      - .address_space:  global
        .offset:         64
        .size:           8
        .value_kind:     global_buffer
      - .address_space:  global
        .offset:         72
        .size:           8
        .value_kind:     global_buffer
      - .offset:         80
        .size:           4
        .value_kind:     by_value
      - .address_space:  global
        .offset:         88
        .size:           8
        .value_kind:     global_buffer
      - .address_space:  global
        .offset:         96
        .size:           8
        .value_kind:     global_buffer
    .group_segment_fixed_size: 8064
    .kernarg_segment_align: 8
    .kernarg_segment_size: 104
    .language:       OpenCL C
    .language_version:
      - 2
      - 0
    .max_flat_workgroup_size: 63
    .name:           bluestein_single_back_len504_dim1_dp_op_CI_CI
    .private_segment_fixed_size: 0
    .sgpr_count:     28
    .sgpr_spill_count: 0
    .symbol:         bluestein_single_back_len504_dim1_dp_op_CI_CI.kd
    .uniform_work_group_size: 1
    .uses_dynamic_stack: false
    .vgpr_count:     201
    .vgpr_spill_count: 0
    .wavefront_size: 32
    .workgroup_processor_mode: 1
amdhsa.target:   amdgcn-amd-amdhsa--gfx1201
amdhsa.version:
  - 1
  - 2
...

	.end_amdgpu_metadata
